;; amdgpu-corpus repo=ROCm/rocFFT kind=compiled arch=gfx950 opt=O3
	.text
	.amdgcn_target "amdgcn-amd-amdhsa--gfx950"
	.amdhsa_code_object_version 6
	.protected	fft_rtc_fwd_len17_factors_17_wgs_120_tpt_1_dp_op_CI_CI_unitstride_sbrr_dirReg ; -- Begin function fft_rtc_fwd_len17_factors_17_wgs_120_tpt_1_dp_op_CI_CI_unitstride_sbrr_dirReg
	.globl	fft_rtc_fwd_len17_factors_17_wgs_120_tpt_1_dp_op_CI_CI_unitstride_sbrr_dirReg
	.p2align	8
	.type	fft_rtc_fwd_len17_factors_17_wgs_120_tpt_1_dp_op_CI_CI_unitstride_sbrr_dirReg,@function
fft_rtc_fwd_len17_factors_17_wgs_120_tpt_1_dp_op_CI_CI_unitstride_sbrr_dirReg: ; @fft_rtc_fwd_len17_factors_17_wgs_120_tpt_1_dp_op_CI_CI_unitstride_sbrr_dirReg
; %bb.0:
	s_load_dwordx4 s[4:7], s[0:1], 0x58
	s_load_dwordx2 s[12:13], s[0:1], 0x8
	s_load_dwordx4 s[8:11], s[0:1], 0x18
	s_mulk_i32 s2, 0x78
	v_add_u32_e32 v4, s2, v0
	v_mov_b32_e32 v2, 0
	s_waitcnt lgkmcnt(0)
	v_cmp_lt_u64_e64 s[2:3], s[12:13], 2
	v_mov_b32_e32 v5, v2
	s_and_b64 vcc, exec, s[2:3]
	v_mov_b64_e32 v[0:1], 0
	s_cbranch_vccnz .LBB0_8
; %bb.1:
	s_load_dwordx2 s[2:3], s[0:1], 0x10
	s_add_u32 s14, s10, 8
	s_addc_u32 s15, s11, 0
	s_add_u32 s16, s8, 8
	s_addc_u32 s17, s9, 0
	s_waitcnt lgkmcnt(0)
	s_add_u32 s18, s2, 8
	v_mov_b64_e32 v[0:1], 0
	s_addc_u32 s19, s3, 0
	s_mov_b64 s[20:21], 1
	v_mov_b64_e32 v[68:69], v[0:1]
.LBB0_2:                                ; =>This Inner Loop Header: Depth=1
	s_load_dwordx2 s[22:23], s[18:19], 0x0
                                        ; implicit-def: $vgpr70_vgpr71
	s_waitcnt lgkmcnt(0)
	v_or_b32_e32 v3, s23, v5
	v_cmp_ne_u64_e32 vcc, 0, v[2:3]
	s_and_saveexec_b64 s[2:3], vcc
	s_xor_b64 s[24:25], exec, s[2:3]
	s_cbranch_execz .LBB0_4
; %bb.3:                                ;   in Loop: Header=BB0_2 Depth=1
	v_cvt_f32_u32_e32 v3, s22
	v_cvt_f32_u32_e32 v6, s23
	s_sub_u32 s2, 0, s22
	s_subb_u32 s3, 0, s23
	v_fmac_f32_e32 v3, 0x4f800000, v6
	v_rcp_f32_e32 v3, v3
	s_nop 0
	v_mul_f32_e32 v3, 0x5f7ffffc, v3
	v_mul_f32_e32 v6, 0x2f800000, v3
	v_trunc_f32_e32 v6, v6
	v_fmac_f32_e32 v3, 0xcf800000, v6
	v_cvt_u32_f32_e32 v10, v6
	v_cvt_u32_f32_e32 v3, v3
	v_mul_lo_u32 v6, s2, v10
	v_mul_hi_u32 v8, s2, v3
	v_mul_lo_u32 v7, s3, v3
	v_add_u32_e32 v8, v8, v6
	v_mul_lo_u32 v11, s2, v3
	v_add_u32_e32 v12, v8, v7
	v_mul_hi_u32 v6, v3, v11
	v_mul_hi_u32 v9, v3, v12
	v_mul_lo_u32 v8, v3, v12
	v_mov_b32_e32 v7, v2
	v_lshl_add_u64 v[6:7], v[6:7], 0, v[8:9]
	v_mul_hi_u32 v9, v10, v11
	v_mul_lo_u32 v11, v10, v11
	v_add_co_u32_e32 v6, vcc, v6, v11
	v_mul_hi_u32 v8, v10, v12
	s_nop 0
	v_addc_co_u32_e32 v6, vcc, v7, v9, vcc
	v_mov_b32_e32 v7, v2
	s_nop 0
	v_addc_co_u32_e32 v9, vcc, 0, v8, vcc
	v_mul_lo_u32 v8, v10, v12
	v_lshl_add_u64 v[6:7], v[6:7], 0, v[8:9]
	v_add_co_u32_e32 v3, vcc, v3, v6
	v_mul_lo_u32 v8, s2, v3
	s_nop 0
	v_addc_co_u32_e32 v10, vcc, v10, v7, vcc
	v_mul_lo_u32 v6, s2, v10
	v_mul_hi_u32 v7, s2, v3
	v_add_u32_e32 v6, v7, v6
	v_mul_lo_u32 v7, s3, v3
	v_add_u32_e32 v11, v6, v7
	v_mul_hi_u32 v13, v10, v8
	v_mul_lo_u32 v14, v10, v8
	v_mul_hi_u32 v7, v3, v11
	v_mul_lo_u32 v6, v3, v11
	v_mul_hi_u32 v8, v3, v8
	v_mov_b32_e32 v9, v2
	v_lshl_add_u64 v[6:7], v[8:9], 0, v[6:7]
	v_add_co_u32_e32 v6, vcc, v6, v14
	v_mul_hi_u32 v12, v10, v11
	s_nop 0
	v_addc_co_u32_e32 v6, vcc, v7, v13, vcc
	v_mul_lo_u32 v8, v10, v11
	s_nop 0
	v_addc_co_u32_e32 v9, vcc, 0, v12, vcc
	v_mov_b32_e32 v7, v2
	v_lshl_add_u64 v[6:7], v[6:7], 0, v[8:9]
	v_add_co_u32_e32 v3, vcc, v3, v6
	v_mul_hi_u32 v8, v4, v3
	s_nop 0
	v_addc_co_u32_e32 v10, vcc, v10, v7, vcc
	v_mad_u64_u32 v[6:7], s[2:3], v4, v10, 0
	v_mov_b32_e32 v9, v2
	v_lshl_add_u64 v[6:7], v[8:9], 0, v[6:7]
	v_mad_u64_u32 v[8:9], s[2:3], v5, v10, 0
	v_mad_u64_u32 v[10:11], s[2:3], v5, v3, 0
	v_add_co_u32_e32 v3, vcc, v6, v10
	s_nop 1
	v_addc_co_u32_e32 v6, vcc, v7, v11, vcc
	v_mov_b32_e32 v7, v2
	s_nop 0
	v_addc_co_u32_e32 v9, vcc, 0, v9, vcc
	v_lshl_add_u64 v[6:7], v[6:7], 0, v[8:9]
	v_mul_lo_u32 v3, s23, v6
	v_mul_lo_u32 v10, s22, v7
	v_mad_u64_u32 v[8:9], s[2:3], s22, v6, 0
	v_add3_u32 v3, v9, v10, v3
	v_sub_u32_e32 v9, v5, v3
	v_mov_b32_e32 v10, s23
	v_sub_co_u32_e32 v12, vcc, v4, v8
	s_nop 1
	v_subb_co_u32_e64 v8, s[2:3], v9, v10, vcc
	v_subrev_co_u32_e64 v9, s[2:3], s22, v12
	v_subb_co_u32_e32 v3, vcc, v5, v3, vcc
	s_nop 0
	v_subbrev_co_u32_e64 v8, s[2:3], 0, v8, s[2:3]
	v_cmp_le_u32_e64 s[2:3], s23, v8
	v_cmp_le_u32_e32 vcc, s23, v3
	s_nop 0
	v_cndmask_b32_e64 v10, 0, -1, s[2:3]
	v_cmp_le_u32_e64 s[2:3], s22, v9
	s_nop 1
	v_cndmask_b32_e64 v9, 0, -1, s[2:3]
	v_cmp_eq_u32_e64 s[2:3], s23, v8
	s_nop 1
	v_cndmask_b32_e64 v13, v10, v9, s[2:3]
	v_lshl_add_u64 v[8:9], v[6:7], 0, 2
	v_lshl_add_u64 v[10:11], v[6:7], 0, 1
	v_cmp_ne_u32_e64 s[2:3], 0, v13
	s_nop 1
	v_cndmask_b32_e64 v9, v11, v9, s[2:3]
	v_cndmask_b32_e64 v11, 0, -1, vcc
	v_cmp_le_u32_e32 vcc, s22, v12
	s_nop 1
	v_cndmask_b32_e64 v12, 0, -1, vcc
	v_cmp_eq_u32_e32 vcc, s23, v3
	s_nop 1
	v_cndmask_b32_e32 v3, v11, v12, vcc
	v_cmp_ne_u32_e32 vcc, 0, v3
	v_cndmask_b32_e64 v3, v10, v8, s[2:3]
	s_nop 0
	v_cndmask_b32_e32 v71, v7, v9, vcc
	v_cndmask_b32_e32 v70, v6, v3, vcc
.LBB0_4:                                ;   in Loop: Header=BB0_2 Depth=1
	s_andn2_saveexec_b64 s[2:3], s[24:25]
	s_cbranch_execz .LBB0_6
; %bb.5:                                ;   in Loop: Header=BB0_2 Depth=1
	v_cvt_f32_u32_e32 v3, s22
	s_sub_i32 s24, 0, s22
	v_mov_b32_e32 v71, v2
	v_rcp_iflag_f32_e32 v3, v3
	s_nop 0
	v_mul_f32_e32 v3, 0x4f7ffffe, v3
	v_cvt_u32_f32_e32 v3, v3
	v_mul_lo_u32 v6, s24, v3
	v_mul_hi_u32 v6, v3, v6
	v_add_u32_e32 v3, v3, v6
	v_mul_hi_u32 v3, v4, v3
	v_mul_lo_u32 v6, v3, s22
	v_sub_u32_e32 v6, v4, v6
	v_add_u32_e32 v7, 1, v3
	v_subrev_u32_e32 v8, s22, v6
	v_cmp_le_u32_e32 vcc, s22, v6
	s_nop 1
	v_cndmask_b32_e32 v6, v6, v8, vcc
	v_cndmask_b32_e32 v3, v3, v7, vcc
	v_add_u32_e32 v7, 1, v3
	v_cmp_le_u32_e32 vcc, s22, v6
	s_nop 1
	v_cndmask_b32_e32 v70, v3, v7, vcc
.LBB0_6:                                ;   in Loop: Header=BB0_2 Depth=1
	s_or_b64 exec, exec, s[2:3]
	v_mad_u64_u32 v[6:7], s[2:3], v70, s22, 0
	s_load_dwordx2 s[2:3], s[16:17], 0x0
	v_mul_lo_u32 v3, v71, s22
	v_mul_lo_u32 v8, v70, s23
	s_load_dwordx2 s[22:23], s[14:15], 0x0
	s_add_u32 s20, s20, 1
	v_add3_u32 v3, v7, v8, v3
	v_sub_co_u32_e32 v4, vcc, v4, v6
	s_addc_u32 s21, s21, 0
	s_nop 0
	v_subb_co_u32_e32 v3, vcc, v5, v3, vcc
	s_add_u32 s14, s14, 8
	s_waitcnt lgkmcnt(0)
	v_mul_lo_u32 v5, s2, v3
	v_mul_lo_u32 v6, s3, v4
	v_mad_u64_u32 v[0:1], s[2:3], s2, v4, v[0:1]
	s_addc_u32 s15, s15, 0
	v_add3_u32 v1, v6, v1, v5
	v_mul_lo_u32 v3, s22, v3
	v_mul_lo_u32 v5, s23, v4
	v_mad_u64_u32 v[68:69], s[2:3], s22, v4, v[68:69]
	s_add_u32 s16, s16, 8
	v_add3_u32 v69, v5, v69, v3
	s_addc_u32 s17, s17, 0
	v_mov_b64_e32 v[4:5], s[12:13]
	s_add_u32 s18, s18, 8
	v_cmp_ge_u64_e32 vcc, s[20:21], v[4:5]
	s_addc_u32 s19, s19, 0
	s_cbranch_vccnz .LBB0_9
; %bb.7:                                ;   in Loop: Header=BB0_2 Depth=1
	v_mov_b64_e32 v[4:5], v[70:71]
	s_branch .LBB0_2
.LBB0_8:
	v_mov_b64_e32 v[68:69], v[0:1]
	v_mov_b64_e32 v[70:71], v[4:5]
.LBB0_9:
	s_load_dwordx2 s[2:3], s[0:1], 0x28
	s_lshl_b64 s[12:13], s[12:13], 3
	s_add_u32 s0, s10, s12
	s_addc_u32 s1, s11, s13
                                        ; implicit-def: $vgpr62_vgpr63
                                        ; implicit-def: $vgpr38_vgpr39
                                        ; implicit-def: $vgpr46_vgpr47
                                        ; implicit-def: $vgpr58_vgpr59
                                        ; implicit-def: $vgpr66_vgpr67
                                        ; implicit-def: $vgpr34_vgpr35
                                        ; implicit-def: $vgpr42_vgpr43
                                        ; implicit-def: $vgpr50_vgpr51
                                        ; implicit-def: $vgpr54_vgpr55
                                        ; implicit-def: $vgpr18_vgpr19
                                        ; implicit-def: $vgpr22_vgpr23
                                        ; implicit-def: $vgpr26_vgpr27
                                        ; implicit-def: $vgpr30_vgpr31
                                        ; implicit-def: $vgpr6_vgpr7
                                        ; implicit-def: $vgpr10_vgpr11
                                        ; implicit-def: $vgpr14_vgpr15
                                        ; implicit-def: $vgpr2_vgpr3
	s_waitcnt lgkmcnt(0)
	v_cmp_gt_u64_e32 vcc, s[2:3], v[70:71]
	s_and_saveexec_b64 s[2:3], vcc
	s_cbranch_execnz .LBB0_12
; %bb.10:
	s_or_b64 exec, exec, s[2:3]
	s_and_saveexec_b64 s[2:3], vcc
	s_cbranch_execnz .LBB0_13
.LBB0_11:
	s_endpgm
.LBB0_12:
	s_add_u32 s8, s8, s12
	s_addc_u32 s9, s9, s13
	s_load_dwordx2 s[8:9], s[8:9], 0x0
	s_waitcnt lgkmcnt(0)
	v_mul_lo_u32 v4, s9, v70
	v_mul_lo_u32 v5, s8, v71
	v_mad_u64_u32 v[2:3], s[8:9], s8, v70, 0
	v_add3_u32 v3, v3, v5, v4
	v_lshl_add_u64 v[2:3], v[2:3], 4, s[4:5]
	v_lshl_add_u64 v[72:73], v[0:1], 4, v[2:3]
	global_load_dwordx4 v[4:7], v[72:73], off offset:48
	global_load_dwordx4 v[8:11], v[72:73], off offset:32
	;; [unrolled: 1-line block ×3, first 2 shown]
	global_load_dwordx4 v[0:3], v[72:73], off
	global_load_dwordx4 v[16:19], v[72:73], off offset:112
	global_load_dwordx4 v[20:23], v[72:73], off offset:96
	;; [unrolled: 1-line block ×13, first 2 shown]
	s_or_b64 exec, exec, s[2:3]
	s_and_saveexec_b64 s[2:3], vcc
	s_cbranch_execz .LBB0_11
.LBB0_13:
	s_waitcnt vmcnt(13)
	v_add_f64 v[72:73], v[14:15], v[2:3]
	v_add_f64 v[74:75], v[12:13], v[0:1]
	;; [unrolled: 1-line block ×6, first 2 shown]
	s_waitcnt vmcnt(9)
	v_add_f64 v[72:73], v[30:31], v[72:73]
	v_add_f64 v[74:75], v[28:29], v[74:75]
	;; [unrolled: 1-line block ×8, first 2 shown]
	s_waitcnt vmcnt(5)
	v_add_f64 v[72:73], v[54:55], v[72:73]
	v_add_f64 v[76:77], v[52:53], v[74:75]
	;; [unrolled: 1-line block ×3, first 2 shown]
	v_add_f64 v[86:87], v[52:53], -v[48:49]
	v_add_f64 v[52:53], v[48:49], v[52:53]
	v_add_f64 v[84:85], v[54:55], -v[50:51]
	v_add_f64 v[50:51], v[50:51], v[72:73]
	v_add_f64 v[48:49], v[48:49], v[76:77]
	;; [unrolled: 1-line block ×3, first 2 shown]
	v_add_f64 v[98:99], v[16:17], -v[40:41]
	v_add_f64 v[54:55], v[40:41], v[16:17]
	v_add_f64 v[92:93], v[18:19], -v[42:43]
	v_add_f64 v[16:17], v[42:43], v[50:51]
	v_add_f64 v[18:19], v[40:41], v[48:49]
	;; [unrolled: 1-line block ×4, first 2 shown]
	s_waitcnt vmcnt(1)
	v_add_f64 v[16:17], v[66:67], v[16:17]
	v_add_f64 v[18:19], v[64:65], v[18:19]
	v_add_f64 v[16:17], v[58:59], v[16:17]
	v_add_f64 v[18:19], v[56:57], v[18:19]
	s_mov_b32 s18, 0xacd6c6b4
	v_add_f64 v[110:111], v[24:25], -v[64:65]
	v_add_f64 v[76:77], v[64:65], v[24:25]
	v_add_f64 v[112:113], v[28:29], -v[56:57]
	v_add_f64 v[64:65], v[56:57], v[28:29]
	v_add_f64 v[88:89], v[46:47], v[6:7]
	v_add_f64 v[118:119], v[4:5], -v[44:45]
	v_add_f64 v[56:57], v[44:45], v[4:5]
	v_add_f64 v[108:109], v[6:7], -v[46:47]
	v_add_f64 v[4:5], v[46:47], v[16:17]
	v_add_f64 v[6:7], v[44:45], v[18:19]
	s_waitcnt vmcnt(0)
	v_add_f64 v[122:123], v[12:13], -v[60:61]
	s_mov_b32 s28, 0x5d8e7cdc
	s_mov_b32 s19, 0xbfc7851a
	;; [unrolled: 1-line block ×3, first 2 shown]
	v_add_f64 v[82:83], v[66:67], v[26:27]
	v_add_f64 v[96:97], v[26:27], -v[66:67]
	v_add_f64 v[66:67], v[58:59], v[30:31]
	v_add_f64 v[104:105], v[30:31], -v[58:59]
	v_add_f64 v[120:121], v[8:9], -v[36:37]
	v_add_f64 v[58:59], v[36:37], v[8:9]
	v_add_f64 v[4:5], v[38:39], v[4:5]
	;; [unrolled: 1-line block ×5, first 2 shown]
	s_mov_b32 s29, 0x3fd71e95
	s_mov_b32 s14, 0x370991
	;; [unrolled: 1-line block ×3, first 2 shown]
	v_mul_f64 v[12:13], v[122:123], s[18:19]
	s_mov_b32 s20, 0x4363dd80
	v_add_f64 v[90:91], v[38:39], v[10:11]
	v_add_f64 v[116:117], v[14:15], -v[62:63]
	v_add_f64 v[6:7], v[62:63], v[4:5]
	v_add_f64 v[4:5], v[60:61], v[8:9]
	s_mov_b32 s15, 0x3fedd6d0
	v_fma_f64 v[8:9], v[100:101], s[2:3], -v[12:13]
	v_mul_f64 v[14:15], v[120:121], s[28:29]
	s_mov_b32 s21, 0xbfe0d888
	s_mov_b32 s8, 0x910ea3b9
	;; [unrolled: 1-line block ×3, first 2 shown]
	v_add_f64 v[114:115], v[10:11], -v[38:39]
	v_add_f64 v[8:9], v[2:3], v[8:9]
	v_fma_f64 v[10:11], v[90:91], s[14:15], -v[14:15]
	s_mov_b32 s9, 0xbfeb34fa
	v_mul_f64 v[16:17], v[118:119], s[20:21]
	s_mov_b32 s39, 0x3fe58eea
	s_mov_b32 s4, 0x75d4884
	;; [unrolled: 1-line block ×3, first 2 shown]
	v_add_f64 v[8:9], v[10:11], v[8:9]
	v_fma_f64 v[10:11], v[88:89], s[8:9], -v[16:17]
	s_mov_b32 s5, 0x3fe7a5f6
	v_mul_f64 v[18:19], v[112:113], s[38:39]
	s_mov_b32 s25, 0xbfe9895b
	s_mov_b32 s10, 0x6ed5f1bb
	;; [unrolled: 1-line block ×3, first 2 shown]
	v_add_f64 v[106:107], v[20:21], -v[32:33]
	v_add_f64 v[72:73], v[32:33], v[20:21]
	v_add_f64 v[8:9], v[10:11], v[8:9]
	v_fma_f64 v[10:11], v[66:67], s[4:5], -v[18:19]
	s_mov_b32 s11, 0xbfe348c8
	v_mul_f64 v[20:21], v[110:111], s[24:25]
	s_mov_b32 s31, 0x3feca52d
	s_mov_b32 s12, 0x2b2883cd
	;; [unrolled: 1-line block ×3, first 2 shown]
	v_add_f64 v[80:81], v[34:35], v[22:23]
	v_add_f64 v[94:95], v[22:23], -v[34:35]
	v_add_f64 v[8:9], v[10:11], v[8:9]
	v_fma_f64 v[10:11], v[82:83], s[10:11], -v[20:21]
	s_mov_b32 s13, 0x3fdc86fa
	v_mul_f64 v[22:23], v[106:107], s[30:31]
	s_mov_b32 s27, 0xbfeec746
	s_mov_b32 s16, 0xc61f0d01
	v_add_f64 v[8:9], v[10:11], v[8:9]
	v_fma_f64 v[10:11], v[80:81], s[12:13], -v[22:23]
	s_mov_b32 s17, 0xbfd183b1
	v_mul_f64 v[24:25], v[98:99], s[26:27]
	v_add_f64 v[8:9], v[10:11], v[8:9]
	v_fma_f64 v[10:11], v[78:79], s[16:17], -v[24:25]
	v_mul_f64 v[26:27], v[116:117], s[18:19]
	v_add_f64 v[8:9], v[10:11], v[8:9]
	v_fma_f64 v[10:11], s[2:3], v[102:103], v[26:27]
	v_mul_f64 v[28:29], v[114:115], s[28:29]
	v_add_f64 v[10:11], v[0:1], v[10:11]
	v_fma_f64 v[30:31], s[14:15], v[58:59], v[28:29]
	v_add_f64 v[10:11], v[30:31], v[10:11]
	v_mul_f64 v[30:31], v[108:109], s[20:21]
	v_fma_f64 v[32:33], s[8:9], v[56:57], v[30:31]
	v_fmac_f64_e32 v[12:13], s[2:3], v[100:101]
	v_add_f64 v[10:11], v[32:33], v[10:11]
	v_mul_f64 v[32:33], v[104:105], s[38:39]
	v_fmac_f64_e32 v[14:15], s[14:15], v[90:91]
	v_add_f64 v[12:13], v[2:3], v[12:13]
	v_fma_f64 v[34:35], s[4:5], v[64:65], v[32:33]
	v_add_f64 v[12:13], v[14:15], v[12:13]
	v_fmac_f64_e32 v[16:17], s[8:9], v[88:89]
	v_add_f64 v[10:11], v[34:35], v[10:11]
	v_mul_f64 v[34:35], v[96:97], s[24:25]
	v_add_f64 v[12:13], v[16:17], v[12:13]
	v_fma_f64 v[16:17], v[102:103], s[2:3], -v[26:27]
	v_fma_f64 v[36:37], s[10:11], v[76:77], v[34:35]
	v_fma_f64 v[14:15], v[58:59], s[14:15], -v[28:29]
	v_add_f64 v[16:17], v[0:1], v[16:17]
	v_add_f64 v[10:11], v[36:37], v[10:11]
	v_mul_f64 v[36:37], v[94:95], s[30:31]
	v_fmac_f64_e32 v[18:19], s[4:5], v[66:67]
	v_add_f64 v[14:15], v[14:15], v[16:17]
	v_fma_f64 v[16:17], v[56:57], s[8:9], -v[30:31]
	v_fma_f64 v[38:39], s[12:13], v[72:73], v[36:37]
	s_mov_b32 s50, 0xeb564b22
	v_add_f64 v[12:13], v[18:19], v[12:13]
	v_fmac_f64_e32 v[20:21], s[10:11], v[82:83]
	v_add_f64 v[14:15], v[16:17], v[14:15]
	v_fma_f64 v[16:17], v[64:65], s[4:5], -v[32:33]
	v_add_f64 v[10:11], v[38:39], v[10:11]
	v_mul_f64 v[38:39], v[92:93], s[26:27]
	s_mov_b32 s51, 0x3fefdd0d
	s_mov_b32 s22, 0x3259b75e
	v_add_f64 v[12:13], v[20:21], v[12:13]
	v_fmac_f64_e32 v[22:23], s[12:13], v[80:81]
	v_add_f64 v[14:15], v[16:17], v[14:15]
	v_fma_f64 v[16:17], v[76:77], s[10:11], -v[34:35]
	v_fma_f64 v[40:41], s[16:17], v[54:55], v[38:39]
	s_mov_b32 s23, 0x3fb79ee6
	v_mul_f64 v[42:43], v[86:87], s[50:51]
	v_add_f64 v[12:13], v[22:23], v[12:13]
	v_fmac_f64_e32 v[24:25], s[16:17], v[78:79]
	v_add_f64 v[14:15], v[16:17], v[14:15]
	v_fma_f64 v[16:17], v[72:73], s[12:13], -v[36:37]
	v_add_f64 v[40:41], v[40:41], v[10:11]
	v_fma_f64 v[10:11], v[74:75], s[22:23], -v[42:43]
	v_mul_f64 v[44:45], v[84:85], s[50:51]
	v_add_f64 v[12:13], v[24:25], v[12:13]
	v_add_f64 v[14:15], v[16:17], v[14:15]
	v_fma_f64 v[16:17], v[54:55], s[16:17], -v[38:39]
	v_fmac_f64_e32 v[42:43], s[22:23], v[74:75]
	v_add_f64 v[16:17], v[16:17], v[14:15]
	v_add_f64 v[14:15], v[42:43], v[12:13]
	v_fma_f64 v[12:13], v[52:53], s[22:23], -v[44:45]
	v_mul_f64 v[20:21], v[122:123], s[20:21]
	v_add_f64 v[12:13], v[12:13], v[16:17]
	v_fma_f64 v[16:17], v[100:101], s[8:9], -v[20:21]
	v_mul_f64 v[22:23], v[120:121], s[30:31]
	s_mov_b32 s35, 0xbfefdd0d
	s_mov_b32 s34, s50
	v_add_f64 v[16:17], v[2:3], v[16:17]
	v_fma_f64 v[18:19], v[90:91], s[12:13], -v[22:23]
	v_mul_f64 v[24:25], v[118:119], s[34:35]
	s_mov_b32 s47, 0x3fe9895b
	s_mov_b32 s46, s24
	;; [unrolled: 5-line block ×3, first 2 shown]
	v_add_f64 v[16:17], v[18:19], v[16:17]
	v_fma_f64 v[18:19], v[66:67], s[10:11], -v[26:27]
	v_mul_f64 v[28:29], v[110:111], s[36:37]
	v_add_f64 v[16:17], v[18:19], v[16:17]
	v_fma_f64 v[18:19], v[82:83], s[14:15], -v[28:29]
	v_mul_f64 v[30:31], v[106:107], s[18:19]
	;; [unrolled: 3-line block ×4, first 2 shown]
	v_add_f64 v[16:17], v[18:19], v[16:17]
	v_fma_f64 v[18:19], s[8:9], v[102:103], v[34:35]
	v_mul_f64 v[36:37], v[114:115], s[30:31]
	v_add_f64 v[18:19], v[0:1], v[18:19]
	v_fma_f64 v[38:39], s[12:13], v[58:59], v[36:37]
	v_add_f64 v[10:11], v[10:11], v[8:9]
	v_fma_f64 v[8:9], s[22:23], v[52:53], v[44:45]
	v_add_f64 v[18:19], v[38:39], v[18:19]
	v_mul_f64 v[38:39], v[108:109], s[34:35]
	v_add_f64 v[8:9], v[8:9], v[40:41]
	v_fma_f64 v[40:41], s[22:23], v[56:57], v[38:39]
	v_fmac_f64_e32 v[20:21], s[8:9], v[100:101]
	v_add_f64 v[18:19], v[40:41], v[18:19]
	v_mul_f64 v[40:41], v[104:105], s[46:47]
	v_fmac_f64_e32 v[22:23], s[12:13], v[90:91]
	v_add_f64 v[20:21], v[2:3], v[20:21]
	v_fma_f64 v[42:43], s[10:11], v[64:65], v[40:41]
	v_add_f64 v[20:21], v[22:23], v[20:21]
	v_fmac_f64_e32 v[24:25], s[22:23], v[88:89]
	v_add_f64 v[18:19], v[42:43], v[18:19]
	v_mul_f64 v[42:43], v[96:97], s[36:37]
	v_add_f64 v[20:21], v[24:25], v[20:21]
	v_fma_f64 v[24:25], v[102:103], s[8:9], -v[34:35]
	v_fma_f64 v[44:45], s[14:15], v[76:77], v[42:43]
	v_fma_f64 v[22:23], v[58:59], s[12:13], -v[36:37]
	v_add_f64 v[24:25], v[0:1], v[24:25]
	v_add_f64 v[18:19], v[44:45], v[18:19]
	v_mul_f64 v[44:45], v[94:95], s[18:19]
	v_fmac_f64_e32 v[26:27], s[10:11], v[66:67]
	v_add_f64 v[22:23], v[22:23], v[24:25]
	v_fma_f64 v[24:25], v[56:57], s[22:23], -v[38:39]
	v_fma_f64 v[46:47], s[2:3], v[72:73], v[44:45]
	v_add_f64 v[20:21], v[26:27], v[20:21]
	v_fmac_f64_e32 v[28:29], s[14:15], v[82:83]
	v_add_f64 v[22:23], v[24:25], v[22:23]
	v_fma_f64 v[24:25], v[64:65], s[10:11], -v[40:41]
	v_add_f64 v[18:19], v[46:47], v[18:19]
	v_mul_f64 v[46:47], v[92:93], s[38:39]
	v_add_f64 v[20:21], v[28:29], v[20:21]
	v_fmac_f64_e32 v[30:31], s[2:3], v[80:81]
	v_add_f64 v[22:23], v[24:25], v[22:23]
	v_fma_f64 v[24:25], v[76:77], s[14:15], -v[42:43]
	v_fma_f64 v[48:49], s[4:5], v[54:55], v[46:47]
	v_mul_f64 v[50:51], v[86:87], s[26:27]
	v_add_f64 v[20:21], v[30:31], v[20:21]
	v_fmac_f64_e32 v[32:33], s[4:5], v[78:79]
	v_add_f64 v[22:23], v[24:25], v[22:23]
	v_fma_f64 v[24:25], v[72:73], s[2:3], -v[44:45]
	v_add_f64 v[48:49], v[48:49], v[18:19]
	v_fma_f64 v[18:19], v[74:75], s[16:17], -v[50:51]
	v_mul_f64 v[60:61], v[84:85], s[26:27]
	v_add_f64 v[20:21], v[32:33], v[20:21]
	v_add_f64 v[22:23], v[24:25], v[22:23]
	v_fma_f64 v[24:25], v[54:55], s[4:5], -v[46:47]
	v_fmac_f64_e32 v[50:51], s[16:17], v[74:75]
	v_add_f64 v[24:25], v[24:25], v[22:23]
	v_add_f64 v[22:23], v[50:51], v[20:21]
	v_fma_f64 v[20:21], v[52:53], s[16:17], -v[60:61]
	s_mov_b32 s43, 0x3feec746
	s_mov_b32 s42, s26
	v_mul_f64 v[28:29], v[122:123], s[24:25]
	v_add_f64 v[20:21], v[20:21], v[24:25]
	v_fma_f64 v[24:25], v[100:101], s[10:11], -v[28:29]
	v_mul_f64 v[30:31], v[120:121], s[42:43]
	v_add_f64 v[24:25], v[2:3], v[24:25]
	v_fma_f64 v[26:27], v[90:91], s[16:17], -v[30:31]
	;; [unrolled: 3-line block ×4, first 2 shown]
	v_mul_f64 v[36:37], v[110:111], s[50:51]
	s_mov_b32 s41, 0xbfe58eea
	s_mov_b32 s40, s38
	v_add_f64 v[24:25], v[26:27], v[24:25]
	v_fma_f64 v[26:27], v[82:83], s[22:23], -v[36:37]
	v_mul_f64 v[38:39], v[106:107], s[40:41]
	v_add_f64 v[24:25], v[26:27], v[24:25]
	v_fma_f64 v[26:27], v[80:81], s[4:5], -v[38:39]
	v_mul_f64 v[40:41], v[98:99], s[18:19]
	;; [unrolled: 3-line block ×3, first 2 shown]
	v_add_f64 v[24:25], v[26:27], v[24:25]
	v_fma_f64 v[26:27], s[10:11], v[102:103], v[42:43]
	v_mul_f64 v[44:45], v[114:115], s[42:43]
	v_add_f64 v[26:27], v[0:1], v[26:27]
	v_fma_f64 v[46:47], s[16:17], v[58:59], v[44:45]
	v_add_f64 v[18:19], v[18:19], v[16:17]
	v_fma_f64 v[16:17], s[16:17], v[52:53], v[60:61]
	v_add_f64 v[26:27], v[46:47], v[26:27]
	v_mul_f64 v[46:47], v[108:109], s[36:37]
	v_add_f64 v[16:17], v[16:17], v[48:49]
	v_fma_f64 v[48:49], s[14:15], v[56:57], v[46:47]
	v_fmac_f64_e32 v[28:29], s[10:11], v[100:101]
	v_add_f64 v[26:27], v[48:49], v[26:27]
	v_mul_f64 v[48:49], v[104:105], s[20:21]
	v_fmac_f64_e32 v[30:31], s[16:17], v[90:91]
	v_add_f64 v[28:29], v[2:3], v[28:29]
	v_fma_f64 v[50:51], s[8:9], v[64:65], v[48:49]
	v_add_f64 v[28:29], v[30:31], v[28:29]
	v_fmac_f64_e32 v[32:33], s[14:15], v[88:89]
	v_add_f64 v[26:27], v[50:51], v[26:27]
	v_mul_f64 v[50:51], v[96:97], s[50:51]
	v_add_f64 v[28:29], v[32:33], v[28:29]
	v_fma_f64 v[32:33], v[102:103], s[10:11], -v[42:43]
	v_fma_f64 v[60:61], s[22:23], v[76:77], v[50:51]
	v_fma_f64 v[30:31], v[58:59], s[16:17], -v[44:45]
	v_add_f64 v[32:33], v[0:1], v[32:33]
	v_add_f64 v[26:27], v[60:61], v[26:27]
	v_mul_f64 v[60:61], v[94:95], s[40:41]
	v_fmac_f64_e32 v[34:35], s[8:9], v[66:67]
	v_add_f64 v[30:31], v[30:31], v[32:33]
	v_fma_f64 v[32:33], v[56:57], s[14:15], -v[46:47]
	v_fma_f64 v[62:63], s[4:5], v[72:73], v[60:61]
	v_add_f64 v[28:29], v[34:35], v[28:29]
	v_fmac_f64_e32 v[36:37], s[22:23], v[82:83]
	v_add_f64 v[30:31], v[32:33], v[30:31]
	v_fma_f64 v[32:33], v[64:65], s[8:9], -v[48:49]
	v_add_f64 v[26:27], v[62:63], v[26:27]
	v_mul_f64 v[62:63], v[92:93], s[18:19]
	v_add_f64 v[28:29], v[36:37], v[28:29]
	v_fmac_f64_e32 v[38:39], s[4:5], v[80:81]
	v_add_f64 v[30:31], v[32:33], v[30:31]
	v_fma_f64 v[32:33], v[76:77], s[22:23], -v[50:51]
	v_fma_f64 v[124:125], s[2:3], v[54:55], v[62:63]
	v_mul_f64 v[126:127], v[86:87], s[30:31]
	v_add_f64 v[28:29], v[38:39], v[28:29]
	v_fmac_f64_e32 v[40:41], s[2:3], v[78:79]
	v_add_f64 v[30:31], v[32:33], v[30:31]
	v_fma_f64 v[32:33], v[72:73], s[4:5], -v[60:61]
	v_add_f64 v[124:125], v[124:125], v[26:27]
	v_fma_f64 v[26:27], v[74:75], s[12:13], -v[126:127]
	v_mul_f64 v[128:129], v[84:85], s[30:31]
	v_add_f64 v[28:29], v[40:41], v[28:29]
	v_add_f64 v[30:31], v[32:33], v[30:31]
	v_fma_f64 v[32:33], v[54:55], s[2:3], -v[62:63]
	v_fmac_f64_e32 v[126:127], s[12:13], v[74:75]
	v_add_f64 v[32:33], v[32:33], v[30:31]
	v_add_f64 v[30:31], v[126:127], v[28:29]
	v_fma_f64 v[28:29], v[52:53], s[12:13], -v[128:129]
	s_mov_b32 s49, 0x3fe0d888
	s_mov_b32 s48, s20
	v_mul_f64 v[36:37], v[122:123], s[26:27]
	v_add_f64 v[28:29], v[28:29], v[32:33]
	v_fma_f64 v[32:33], v[100:101], s[16:17], -v[36:37]
	v_mul_f64 v[38:39], v[120:121], s[48:49]
	v_add_f64 v[32:33], v[2:3], v[32:33]
	v_fma_f64 v[34:35], v[90:91], s[8:9], -v[38:39]
	v_mul_f64 v[40:41], v[118:119], s[38:39]
	s_mov_b32 s45, 0xbfeca52d
	s_mov_b32 s44, s30
	v_add_f64 v[32:33], v[34:35], v[32:33]
	v_fma_f64 v[34:35], v[88:89], s[4:5], -v[40:41]
	v_mul_f64 v[42:43], v[112:113], s[44:45]
	v_add_f64 v[32:33], v[34:35], v[32:33]
	v_fma_f64 v[34:35], v[66:67], s[12:13], -v[42:43]
	v_mul_f64 v[44:45], v[110:111], s[18:19]
	;; [unrolled: 3-line block ×5, first 2 shown]
	v_add_f64 v[32:33], v[34:35], v[32:33]
	v_fma_f64 v[34:35], s[16:17], v[102:103], v[50:51]
	v_mul_f64 v[60:61], v[114:115], s[48:49]
	v_add_f64 v[34:35], v[0:1], v[34:35]
	v_fma_f64 v[62:63], s[8:9], v[58:59], v[60:61]
	v_add_f64 v[26:27], v[26:27], v[24:25]
	v_fma_f64 v[24:25], s[12:13], v[52:53], v[128:129]
	v_add_f64 v[34:35], v[62:63], v[34:35]
	v_mul_f64 v[62:63], v[108:109], s[38:39]
	v_add_f64 v[24:25], v[24:25], v[124:125]
	v_fma_f64 v[124:125], s[4:5], v[56:57], v[62:63]
	v_fmac_f64_e32 v[36:37], s[16:17], v[100:101]
	v_add_f64 v[34:35], v[124:125], v[34:35]
	v_mul_f64 v[124:125], v[104:105], s[44:45]
	v_fmac_f64_e32 v[38:39], s[8:9], v[90:91]
	v_add_f64 v[36:37], v[2:3], v[36:37]
	v_fma_f64 v[126:127], s[12:13], v[64:65], v[124:125]
	v_add_f64 v[36:37], v[38:39], v[36:37]
	v_fmac_f64_e32 v[40:41], s[4:5], v[88:89]
	v_add_f64 v[34:35], v[126:127], v[34:35]
	v_mul_f64 v[126:127], v[96:97], s[18:19]
	v_add_f64 v[36:37], v[40:41], v[36:37]
	v_fma_f64 v[40:41], v[102:103], s[16:17], -v[50:51]
	v_fma_f64 v[128:129], s[2:3], v[76:77], v[126:127]
	v_fma_f64 v[38:39], v[58:59], s[8:9], -v[60:61]
	v_add_f64 v[40:41], v[0:1], v[40:41]
	v_add_f64 v[34:35], v[128:129], v[34:35]
	v_mul_f64 v[128:129], v[94:95], s[50:51]
	v_fmac_f64_e32 v[42:43], s[12:13], v[66:67]
	v_add_f64 v[38:39], v[38:39], v[40:41]
	v_fma_f64 v[40:41], v[56:57], s[4:5], -v[62:63]
	v_fma_f64 v[130:131], s[22:23], v[72:73], v[128:129]
	v_add_f64 v[36:37], v[42:43], v[36:37]
	v_fmac_f64_e32 v[44:45], s[2:3], v[82:83]
	v_add_f64 v[38:39], v[40:41], v[38:39]
	v_fma_f64 v[40:41], v[64:65], s[12:13], -v[124:125]
	v_add_f64 v[34:35], v[130:131], v[34:35]
	v_mul_f64 v[130:131], v[92:93], s[36:37]
	v_add_f64 v[36:37], v[44:45], v[36:37]
	v_fmac_f64_e32 v[46:47], s[22:23], v[80:81]
	v_add_f64 v[38:39], v[40:41], v[38:39]
	v_fma_f64 v[40:41], v[76:77], s[2:3], -v[126:127]
	v_fma_f64 v[132:133], s[14:15], v[54:55], v[130:131]
	v_mul_f64 v[134:135], v[86:87], s[24:25]
	v_add_f64 v[36:37], v[46:47], v[36:37]
	v_fmac_f64_e32 v[48:49], s[14:15], v[78:79]
	v_add_f64 v[38:39], v[40:41], v[38:39]
	v_fma_f64 v[40:41], v[72:73], s[22:23], -v[128:129]
	v_add_f64 v[132:133], v[132:133], v[34:35]
	v_fma_f64 v[34:35], v[74:75], s[10:11], -v[134:135]
	v_mul_f64 v[136:137], v[84:85], s[24:25]
	v_add_f64 v[36:37], v[48:49], v[36:37]
	v_add_f64 v[38:39], v[40:41], v[38:39]
	v_fma_f64 v[40:41], v[54:55], s[14:15], -v[130:131]
	v_fmac_f64_e32 v[134:135], s[10:11], v[74:75]
	v_add_f64 v[40:41], v[40:41], v[38:39]
	v_add_f64 v[38:39], v[134:135], v[36:37]
	v_fma_f64 v[36:37], v[52:53], s[10:11], -v[136:137]
	v_mul_f64 v[44:45], v[122:123], s[34:35]
	v_add_f64 v[36:37], v[36:37], v[40:41]
	v_fma_f64 v[40:41], v[100:101], s[22:23], -v[44:45]
	v_mul_f64 v[46:47], v[120:121], s[18:19]
	;; [unrolled: 3-line block ×8, first 2 shown]
	v_add_f64 v[40:41], v[42:43], v[40:41]
	v_fma_f64 v[42:43], s[22:23], v[102:103], v[126:127]
	v_mul_f64 v[128:129], v[114:115], s[18:19]
	v_add_f64 v[42:43], v[0:1], v[42:43]
	v_fma_f64 v[130:131], s[2:3], v[58:59], v[128:129]
	v_add_f64 v[34:35], v[34:35], v[32:33]
	v_fma_f64 v[32:33], s[10:11], v[52:53], v[136:137]
	v_add_f64 v[42:43], v[130:131], v[42:43]
	v_mul_f64 v[130:131], v[108:109], s[42:43]
	v_add_f64 v[32:33], v[32:33], v[132:133]
	v_fma_f64 v[132:133], s[16:17], v[56:57], v[130:131]
	v_fmac_f64_e32 v[44:45], s[22:23], v[100:101]
	v_add_f64 v[42:43], v[132:133], v[42:43]
	v_mul_f64 v[132:133], v[104:105], s[28:29]
	v_fmac_f64_e32 v[46:47], s[2:3], v[90:91]
	v_add_f64 v[44:45], v[2:3], v[44:45]
	v_fma_f64 v[134:135], s[14:15], v[64:65], v[132:133]
	v_add_f64 v[44:45], v[46:47], v[44:45]
	v_fmac_f64_e32 v[48:49], s[16:17], v[88:89]
	v_add_f64 v[42:43], v[134:135], v[42:43]
	v_mul_f64 v[134:135], v[96:97], s[44:45]
	v_add_f64 v[44:45], v[48:49], v[44:45]
	v_fma_f64 v[48:49], v[102:103], s[22:23], -v[126:127]
	v_fma_f64 v[136:137], s[12:13], v[76:77], v[134:135]
	v_fma_f64 v[46:47], v[58:59], s[2:3], -v[128:129]
	v_add_f64 v[48:49], v[0:1], v[48:49]
	v_add_f64 v[42:43], v[136:137], v[42:43]
	v_mul_f64 v[136:137], v[94:95], s[20:21]
	v_fmac_f64_e32 v[50:51], s[14:15], v[66:67]
	v_add_f64 v[46:47], v[46:47], v[48:49]
	v_fma_f64 v[48:49], v[56:57], s[16:17], -v[130:131]
	v_fma_f64 v[138:139], s[8:9], v[72:73], v[136:137]
	v_add_f64 v[44:45], v[50:51], v[44:45]
	v_fmac_f64_e32 v[60:61], s[12:13], v[82:83]
	v_add_f64 v[46:47], v[48:49], v[46:47]
	v_fma_f64 v[48:49], v[64:65], s[14:15], -v[132:133]
	v_add_f64 v[42:43], v[138:139], v[42:43]
	v_mul_f64 v[138:139], v[92:93], s[46:47]
	v_add_f64 v[44:45], v[60:61], v[44:45]
	v_fmac_f64_e32 v[62:63], s[8:9], v[80:81]
	v_add_f64 v[46:47], v[48:49], v[46:47]
	v_fma_f64 v[48:49], v[76:77], s[12:13], -v[134:135]
	v_fma_f64 v[140:141], s[10:11], v[54:55], v[138:139]
	v_mul_f64 v[142:143], v[86:87], s[38:39]
	v_add_f64 v[44:45], v[62:63], v[44:45]
	v_fmac_f64_e32 v[124:125], s[10:11], v[78:79]
	v_add_f64 v[46:47], v[48:49], v[46:47]
	v_fma_f64 v[48:49], v[72:73], s[8:9], -v[136:137]
	v_add_f64 v[140:141], v[140:141], v[42:43]
	v_fma_f64 v[42:43], v[74:75], s[4:5], -v[142:143]
	v_mul_f64 v[144:145], v[84:85], s[38:39]
	v_add_f64 v[44:45], v[124:125], v[44:45]
	v_add_f64 v[46:47], v[48:49], v[46:47]
	v_fma_f64 v[48:49], v[54:55], s[10:11], -v[138:139]
	v_fmac_f64_e32 v[142:143], s[4:5], v[74:75]
	v_add_f64 v[46:47], v[48:49], v[46:47]
	v_add_f64 v[50:51], v[142:143], v[44:45]
	v_fma_f64 v[44:45], v[52:53], s[4:5], -v[144:145]
	v_mul_f64 v[60:61], v[122:123], s[44:45]
	v_add_f64 v[48:49], v[44:45], v[46:47]
	v_fma_f64 v[44:45], v[100:101], s[12:13], -v[60:61]
	v_mul_f64 v[62:63], v[120:121], s[24:25]
	s_mov_b32 s47, 0x3fc7851a
	s_mov_b32 s46, s18
	v_add_f64 v[44:45], v[2:3], v[44:45]
	v_fma_f64 v[46:47], v[90:91], s[10:11], -v[62:63]
	v_mul_f64 v[124:125], v[118:119], s[46:47]
	v_add_f64 v[44:45], v[46:47], v[44:45]
	v_fma_f64 v[46:47], v[88:89], s[2:3], -v[124:125]
	v_mul_f64 v[126:127], v[112:113], s[42:43]
	v_add_f64 v[44:45], v[46:47], v[44:45]
	v_fma_f64 v[46:47], v[66:67], s[16:17], -v[126:127]
	v_mul_f64 v[128:129], v[110:111], s[38:39]
	v_add_f64 v[44:45], v[46:47], v[44:45]
	v_fma_f64 v[46:47], v[82:83], s[4:5], -v[128:129]
	v_mul_f64 v[130:131], v[106:107], s[36:37]
	v_add_f64 v[44:45], v[46:47], v[44:45]
	v_fma_f64 v[46:47], v[80:81], s[14:15], -v[130:131]
	v_mul_f64 v[132:133], v[98:99], s[34:35]
	v_add_f64 v[44:45], v[46:47], v[44:45]
	v_fma_f64 v[46:47], v[78:79], s[22:23], -v[132:133]
	v_mul_f64 v[134:135], v[116:117], s[44:45]
	v_add_f64 v[44:45], v[46:47], v[44:45]
	v_fma_f64 v[46:47], s[12:13], v[102:103], v[134:135]
	v_mul_f64 v[136:137], v[114:115], s[24:25]
	v_add_f64 v[46:47], v[0:1], v[46:47]
	v_fma_f64 v[138:139], s[10:11], v[58:59], v[136:137]
	v_add_f64 v[42:43], v[42:43], v[40:41]
	v_fma_f64 v[40:41], s[4:5], v[52:53], v[144:145]
	v_add_f64 v[46:47], v[138:139], v[46:47]
	v_mul_f64 v[138:139], v[108:109], s[46:47]
	v_add_f64 v[40:41], v[40:41], v[140:141]
	v_fma_f64 v[140:141], s[2:3], v[56:57], v[138:139]
	v_fmac_f64_e32 v[60:61], s[12:13], v[100:101]
	v_add_f64 v[46:47], v[140:141], v[46:47]
	v_mul_f64 v[140:141], v[104:105], s[42:43]
	v_fmac_f64_e32 v[62:63], s[10:11], v[90:91]
	v_add_f64 v[60:61], v[2:3], v[60:61]
	v_fma_f64 v[142:143], s[16:17], v[64:65], v[140:141]
	v_add_f64 v[60:61], v[62:63], v[60:61]
	v_fmac_f64_e32 v[124:125], s[2:3], v[88:89]
	v_add_f64 v[46:47], v[142:143], v[46:47]
	v_mul_f64 v[142:143], v[96:97], s[38:39]
	v_add_f64 v[60:61], v[124:125], v[60:61]
	v_fma_f64 v[124:125], v[102:103], s[12:13], -v[134:135]
	v_fma_f64 v[144:145], s[4:5], v[76:77], v[142:143]
	v_fma_f64 v[62:63], v[58:59], s[10:11], -v[136:137]
	v_add_f64 v[124:125], v[0:1], v[124:125]
	v_add_f64 v[46:47], v[144:145], v[46:47]
	v_mul_f64 v[144:145], v[94:95], s[36:37]
	v_fmac_f64_e32 v[126:127], s[16:17], v[66:67]
	v_add_f64 v[62:63], v[62:63], v[124:125]
	v_fma_f64 v[124:125], v[56:57], s[2:3], -v[138:139]
	v_fma_f64 v[146:147], s[14:15], v[72:73], v[144:145]
	v_add_f64 v[60:61], v[126:127], v[60:61]
	v_fmac_f64_e32 v[128:129], s[4:5], v[82:83]
	v_add_f64 v[62:63], v[124:125], v[62:63]
	v_fma_f64 v[124:125], v[64:65], s[16:17], -v[140:141]
	v_add_f64 v[46:47], v[146:147], v[46:47]
	v_mul_f64 v[146:147], v[92:93], s[34:35]
	v_add_f64 v[60:61], v[128:129], v[60:61]
	v_fmac_f64_e32 v[130:131], s[14:15], v[80:81]
	v_add_f64 v[62:63], v[124:125], v[62:63]
	v_fma_f64 v[124:125], v[76:77], s[4:5], -v[142:143]
	v_fma_f64 v[148:149], s[22:23], v[54:55], v[146:147]
	v_mul_f64 v[150:151], v[86:87], s[20:21]
	v_add_f64 v[60:61], v[130:131], v[60:61]
	v_fmac_f64_e32 v[132:133], s[22:23], v[78:79]
	v_add_f64 v[62:63], v[124:125], v[62:63]
	v_fma_f64 v[124:125], v[72:73], s[14:15], -v[144:145]
	v_add_f64 v[148:149], v[148:149], v[46:47]
	v_fma_f64 v[46:47], v[74:75], s[8:9], -v[150:151]
	v_mul_f64 v[152:153], v[84:85], s[20:21]
	v_add_f64 v[60:61], v[132:133], v[60:61]
	v_add_f64 v[62:63], v[124:125], v[62:63]
	v_fma_f64 v[124:125], v[54:55], s[22:23], -v[146:147]
	v_fmac_f64_e32 v[150:151], s[8:9], v[74:75]
	v_add_f64 v[124:125], v[124:125], v[62:63]
	v_add_f64 v[62:63], v[150:151], v[60:61]
	v_fma_f64 v[60:61], v[52:53], s[8:9], -v[152:153]
	v_mul_f64 v[128:129], v[122:123], s[40:41]
	v_add_f64 v[60:61], v[60:61], v[124:125]
	v_fma_f64 v[124:125], v[100:101], s[4:5], -v[128:129]
	v_mul_f64 v[130:131], v[120:121], s[34:35]
	v_add_f64 v[124:125], v[2:3], v[124:125]
	v_fma_f64 v[126:127], v[90:91], s[22:23], -v[130:131]
	v_mul_f64 v[132:133], v[118:119], s[24:25]
	v_add_f64 v[124:125], v[126:127], v[124:125]
	v_fma_f64 v[126:127], v[88:89], s[10:11], -v[132:133]
	v_mul_f64 v[134:135], v[112:113], s[18:19]
	v_add_f64 v[124:125], v[126:127], v[124:125]
	v_fma_f64 v[126:127], v[66:67], s[2:3], -v[134:135]
	v_mul_f64 v[136:137], v[110:111], s[48:49]
	v_add_f64 v[124:125], v[126:127], v[124:125]
	v_fma_f64 v[126:127], v[82:83], s[8:9], -v[136:137]
	v_mul_f64 v[138:139], v[106:107], s[42:43]
	v_add_f64 v[124:125], v[126:127], v[124:125]
	v_fma_f64 v[126:127], v[80:81], s[16:17], -v[138:139]
	v_mul_f64 v[140:141], v[98:99], s[30:31]
	v_add_f64 v[124:125], v[126:127], v[124:125]
	v_fma_f64 v[126:127], v[78:79], s[12:13], -v[140:141]
	v_mul_f64 v[142:143], v[116:117], s[40:41]
	v_add_f64 v[124:125], v[126:127], v[124:125]
	v_fma_f64 v[126:127], s[4:5], v[102:103], v[142:143]
	v_mul_f64 v[144:145], v[114:115], s[34:35]
	v_add_f64 v[126:127], v[0:1], v[126:127]
	v_fma_f64 v[146:147], s[22:23], v[58:59], v[144:145]
	v_add_f64 v[46:47], v[46:47], v[44:45]
	v_fma_f64 v[44:45], s[8:9], v[52:53], v[152:153]
	v_add_f64 v[126:127], v[146:147], v[126:127]
	v_mul_f64 v[146:147], v[108:109], s[24:25]
	v_add_f64 v[44:45], v[44:45], v[148:149]
	v_fma_f64 v[148:149], s[10:11], v[56:57], v[146:147]
	v_fmac_f64_e32 v[128:129], s[4:5], v[100:101]
	v_add_f64 v[126:127], v[148:149], v[126:127]
	v_mul_f64 v[148:149], v[104:105], s[18:19]
	v_fmac_f64_e32 v[130:131], s[22:23], v[90:91]
	v_add_f64 v[128:129], v[2:3], v[128:129]
	v_fma_f64 v[150:151], s[2:3], v[64:65], v[148:149]
	v_add_f64 v[128:129], v[130:131], v[128:129]
	v_fmac_f64_e32 v[132:133], s[10:11], v[88:89]
	v_add_f64 v[126:127], v[150:151], v[126:127]
	v_mul_f64 v[150:151], v[96:97], s[48:49]
	v_add_f64 v[128:129], v[132:133], v[128:129]
	v_fma_f64 v[132:133], v[102:103], s[4:5], -v[142:143]
	v_fma_f64 v[152:153], s[8:9], v[76:77], v[150:151]
	v_fma_f64 v[130:131], v[58:59], s[22:23], -v[144:145]
	v_add_f64 v[132:133], v[0:1], v[132:133]
	v_add_f64 v[126:127], v[152:153], v[126:127]
	v_mul_f64 v[152:153], v[94:95], s[42:43]
	v_fmac_f64_e32 v[134:135], s[2:3], v[66:67]
	v_add_f64 v[130:131], v[130:131], v[132:133]
	v_fma_f64 v[132:133], v[56:57], s[10:11], -v[146:147]
	v_fma_f64 v[154:155], s[16:17], v[72:73], v[152:153]
	v_add_f64 v[128:129], v[134:135], v[128:129]
	v_fmac_f64_e32 v[136:137], s[8:9], v[82:83]
	v_add_f64 v[130:131], v[132:133], v[130:131]
	v_fma_f64 v[132:133], v[64:65], s[2:3], -v[148:149]
	v_add_f64 v[126:127], v[154:155], v[126:127]
	v_mul_f64 v[154:155], v[92:93], s[30:31]
	v_add_f64 v[128:129], v[136:137], v[128:129]
	v_fmac_f64_e32 v[138:139], s[16:17], v[80:81]
	v_add_f64 v[130:131], v[132:133], v[130:131]
	v_fma_f64 v[132:133], v[76:77], s[8:9], -v[150:151]
	v_fma_f64 v[156:157], s[12:13], v[54:55], v[154:155]
	v_mul_f64 v[158:159], v[86:87], s[28:29]
	v_add_f64 v[128:129], v[138:139], v[128:129]
	v_fmac_f64_e32 v[140:141], s[12:13], v[78:79]
	v_add_f64 v[130:131], v[132:133], v[130:131]
	v_fma_f64 v[132:133], v[72:73], s[16:17], -v[152:153]
	v_add_f64 v[156:157], v[156:157], v[126:127]
	v_fma_f64 v[126:127], v[74:75], s[14:15], -v[158:159]
	v_mul_f64 v[160:161], v[84:85], s[28:29]
	v_add_f64 v[128:129], v[140:141], v[128:129]
	v_add_f64 v[130:131], v[132:133], v[130:131]
	v_fma_f64 v[132:133], v[54:55], s[12:13], -v[154:155]
	v_fmac_f64_e32 v[158:159], s[14:15], v[74:75]
	v_add_f64 v[132:133], v[132:133], v[130:131]
	v_add_f64 v[130:131], v[158:159], v[128:129]
	v_fma_f64 v[128:129], v[52:53], s[14:15], -v[160:161]
	v_mul_f64 v[122:123], v[122:123], s[36:37]
	v_add_f64 v[128:129], v[128:129], v[132:133]
	v_mul_f64 v[120:121], v[120:121], s[40:41]
	v_fma_f64 v[132:133], v[100:101], s[14:15], -v[122:123]
	v_add_f64 v[132:133], v[2:3], v[132:133]
	v_fma_f64 v[134:135], v[90:91], s[4:5], -v[120:121]
	v_mul_f64 v[118:119], v[118:119], s[44:45]
	v_add_f64 v[132:133], v[134:135], v[132:133]
	v_fma_f64 v[134:135], v[88:89], s[12:13], -v[118:119]
	v_mul_f64 v[112:113], v[112:113], s[34:35]
	;; [unrolled: 3-line block ×6, first 2 shown]
	v_add_f64 v[132:133], v[134:135], v[132:133]
	v_mul_f64 v[114:115], v[114:115], s[40:41]
	v_fma_f64 v[134:135], s[14:15], v[102:103], v[116:117]
	v_add_f64 v[134:135], v[0:1], v[134:135]
	v_fma_f64 v[136:137], s[4:5], v[58:59], v[114:115]
	v_mul_f64 v[108:109], v[108:109], s[44:45]
	v_add_f64 v[134:135], v[136:137], v[134:135]
	v_fma_f64 v[136:137], s[12:13], v[56:57], v[108:109]
	v_mul_f64 v[104:105], v[104:105], s[34:35]
	;; [unrolled: 3-line block ×3, first 2 shown]
	v_fmac_f64_e32 v[122:123], s[14:15], v[100:101]
	v_fma_f64 v[100:101], v[102:103], s[14:15], -v[116:117]
	v_add_f64 v[134:135], v[136:137], v[134:135]
	v_fma_f64 v[136:137], s[16:17], v[76:77], v[96:97]
	v_mul_f64 v[94:95], v[94:95], s[24:25]
	s_load_dwordx2 s[0:1], s[0:1], 0x0
	v_add_f64 v[0:1], v[0:1], v[100:101]
	v_fma_f64 v[58:59], v[58:59], s[4:5], -v[114:115]
	v_add_f64 v[134:135], v[136:137], v[134:135]
	v_fma_f64 v[136:137], s[10:11], v[72:73], v[94:95]
	v_mul_f64 v[92:93], v[92:93], s[20:21]
	v_fma_f64 v[56:57], v[56:57], s[12:13], -v[108:109]
	v_add_f64 v[0:1], v[58:59], v[0:1]
	v_add_f64 v[134:135], v[136:137], v[134:135]
	v_fma_f64 v[136:137], s[8:9], v[54:55], v[92:93]
	v_add_f64 v[2:3], v[2:3], v[122:123]
	v_fmac_f64_e32 v[120:121], s[4:5], v[90:91]
	v_fma_f64 v[64:65], v[64:65], s[22:23], -v[104:105]
	v_add_f64 v[0:1], v[56:57], v[0:1]
	v_add_f64 v[134:135], v[136:137], v[134:135]
	v_mul_f64 v[136:137], v[86:87], s[18:19]
	v_fmac_f64_e32 v[112:113], s[22:23], v[66:67]
	v_fmac_f64_e32 v[118:119], s[12:13], v[88:89]
	v_add_f64 v[2:3], v[120:121], v[2:3]
	v_fma_f64 v[66:67], v[72:73], s[10:11], -v[94:95]
	v_fma_f64 v[72:73], v[76:77], s[16:17], -v[96:97]
	v_add_f64 v[0:1], v[64:65], v[0:1]
	v_fma_f64 v[86:87], v[74:75], s[2:3], -v[136:137]
	v_add_f64 v[2:3], v[118:119], v[2:3]
	v_add_f64 v[0:1], v[72:73], v[0:1]
	;; [unrolled: 1-line block ×3, first 2 shown]
	v_mul_f64 v[132:133], v[84:85], s[18:19]
	s_waitcnt lgkmcnt(0)
	v_mul_lo_u32 v100, s1, v70
	v_mul_lo_u32 v101, s0, v71
	v_mad_u64_u32 v[70:71], s[0:1], s0, v70, 0
	v_fmac_f64_e32 v[110:111], s[16:17], v[82:83]
	v_add_f64 v[2:3], v[112:113], v[2:3]
	v_fma_f64 v[54:55], v[54:55], s[8:9], -v[92:93]
	v_add_f64 v[0:1], v[66:67], v[0:1]
	v_add_f64 v[126:127], v[126:127], v[124:125]
	v_fma_f64 v[124:125], s[14:15], v[52:53], v[160:161]
	v_fma_f64 v[84:85], s[2:3], v[52:53], v[132:133]
	v_add3_u32 v71, v71, v101, v100
	v_fmac_f64_e32 v[106:107], s[10:11], v[80:81]
	v_add_f64 v[2:3], v[110:111], v[2:3]
	v_fma_f64 v[52:53], v[52:53], s[2:3], -v[132:133]
	v_add_f64 v[0:1], v[54:55], v[0:1]
	v_fmac_f64_e32 v[98:99], s[8:9], v[78:79]
	v_add_f64 v[2:3], v[106:107], v[2:3]
	v_add_f64 v[0:1], v[52:53], v[0:1]
	v_lshl_add_u64 v[52:53], v[70:71], 4, s[6:7]
	v_fmac_f64_e32 v[136:137], s[2:3], v[74:75]
	v_add_f64 v[2:3], v[98:99], v[2:3]
	v_lshl_add_u64 v[52:53], v[68:69], 4, v[52:53]
	v_add_f64 v[124:125], v[124:125], v[156:157]
	v_add_f64 v[84:85], v[84:85], v[134:135]
	;; [unrolled: 1-line block ×3, first 2 shown]
	global_store_dwordx4 v[52:53], v[4:7], off
	global_store_dwordx4 v[52:53], v[0:3], off offset:16
	global_store_dwordx4 v[52:53], v[128:131], off offset:32
	;; [unrolled: 1-line block ×16, first 2 shown]
	s_endpgm
	.section	.rodata,"a",@progbits
	.p2align	6, 0x0
	.amdhsa_kernel fft_rtc_fwd_len17_factors_17_wgs_120_tpt_1_dp_op_CI_CI_unitstride_sbrr_dirReg
		.amdhsa_group_segment_fixed_size 0
		.amdhsa_private_segment_fixed_size 0
		.amdhsa_kernarg_size 104
		.amdhsa_user_sgpr_count 2
		.amdhsa_user_sgpr_dispatch_ptr 0
		.amdhsa_user_sgpr_queue_ptr 0
		.amdhsa_user_sgpr_kernarg_segment_ptr 1
		.amdhsa_user_sgpr_dispatch_id 0
		.amdhsa_user_sgpr_kernarg_preload_length 0
		.amdhsa_user_sgpr_kernarg_preload_offset 0
		.amdhsa_user_sgpr_private_segment_size 0
		.amdhsa_uses_dynamic_stack 0
		.amdhsa_enable_private_segment 0
		.amdhsa_system_sgpr_workgroup_id_x 1
		.amdhsa_system_sgpr_workgroup_id_y 0
		.amdhsa_system_sgpr_workgroup_id_z 0
		.amdhsa_system_sgpr_workgroup_info 0
		.amdhsa_system_vgpr_workitem_id 0
		.amdhsa_next_free_vgpr 162
		.amdhsa_next_free_sgpr 52
		.amdhsa_accum_offset 164
		.amdhsa_reserve_vcc 1
		.amdhsa_float_round_mode_32 0
		.amdhsa_float_round_mode_16_64 0
		.amdhsa_float_denorm_mode_32 3
		.amdhsa_float_denorm_mode_16_64 3
		.amdhsa_dx10_clamp 1
		.amdhsa_ieee_mode 1
		.amdhsa_fp16_overflow 0
		.amdhsa_tg_split 0
		.amdhsa_exception_fp_ieee_invalid_op 0
		.amdhsa_exception_fp_denorm_src 0
		.amdhsa_exception_fp_ieee_div_zero 0
		.amdhsa_exception_fp_ieee_overflow 0
		.amdhsa_exception_fp_ieee_underflow 0
		.amdhsa_exception_fp_ieee_inexact 0
		.amdhsa_exception_int_div_zero 0
	.end_amdhsa_kernel
	.text
.Lfunc_end0:
	.size	fft_rtc_fwd_len17_factors_17_wgs_120_tpt_1_dp_op_CI_CI_unitstride_sbrr_dirReg, .Lfunc_end0-fft_rtc_fwd_len17_factors_17_wgs_120_tpt_1_dp_op_CI_CI_unitstride_sbrr_dirReg
                                        ; -- End function
	.section	.AMDGPU.csdata,"",@progbits
; Kernel info:
; codeLenInByte = 7360
; NumSgprs: 58
; NumVgprs: 162
; NumAgprs: 0
; TotalNumVgprs: 162
; ScratchSize: 0
; MemoryBound: 1
; FloatMode: 240
; IeeeMode: 1
; LDSByteSize: 0 bytes/workgroup (compile time only)
; SGPRBlocks: 7
; VGPRBlocks: 20
; NumSGPRsForWavesPerEU: 58
; NumVGPRsForWavesPerEU: 162
; AccumOffset: 164
; Occupancy: 3
; WaveLimiterHint : 1
; COMPUTE_PGM_RSRC2:SCRATCH_EN: 0
; COMPUTE_PGM_RSRC2:USER_SGPR: 2
; COMPUTE_PGM_RSRC2:TRAP_HANDLER: 0
; COMPUTE_PGM_RSRC2:TGID_X_EN: 1
; COMPUTE_PGM_RSRC2:TGID_Y_EN: 0
; COMPUTE_PGM_RSRC2:TGID_Z_EN: 0
; COMPUTE_PGM_RSRC2:TIDIG_COMP_CNT: 0
; COMPUTE_PGM_RSRC3_GFX90A:ACCUM_OFFSET: 40
; COMPUTE_PGM_RSRC3_GFX90A:TG_SPLIT: 0
	.text
	.p2alignl 6, 3212836864
	.fill 256, 4, 3212836864
	.type	__hip_cuid_7e71c4ab771efa3f,@object ; @__hip_cuid_7e71c4ab771efa3f
	.section	.bss,"aw",@nobits
	.globl	__hip_cuid_7e71c4ab771efa3f
__hip_cuid_7e71c4ab771efa3f:
	.byte	0                               ; 0x0
	.size	__hip_cuid_7e71c4ab771efa3f, 1

	.ident	"AMD clang version 19.0.0git (https://github.com/RadeonOpenCompute/llvm-project roc-6.4.0 25133 c7fe45cf4b819c5991fe208aaa96edf142730f1d)"
	.section	".note.GNU-stack","",@progbits
	.addrsig
	.addrsig_sym __hip_cuid_7e71c4ab771efa3f
	.amdgpu_metadata
---
amdhsa.kernels:
  - .agpr_count:     0
    .args:
      - .actual_access:  read_only
        .address_space:  global
        .offset:         0
        .size:           8
        .value_kind:     global_buffer
      - .offset:         8
        .size:           8
        .value_kind:     by_value
      - .actual_access:  read_only
        .address_space:  global
        .offset:         16
        .size:           8
        .value_kind:     global_buffer
      - .actual_access:  read_only
        .address_space:  global
        .offset:         24
        .size:           8
        .value_kind:     global_buffer
      - .actual_access:  read_only
        .address_space:  global
        .offset:         32
        .size:           8
        .value_kind:     global_buffer
      - .offset:         40
        .size:           8
        .value_kind:     by_value
      - .actual_access:  read_only
        .address_space:  global
        .offset:         48
        .size:           8
        .value_kind:     global_buffer
      - .actual_access:  read_only
        .address_space:  global
        .offset:         56
        .size:           8
        .value_kind:     global_buffer
      - .offset:         64
        .size:           4
        .value_kind:     by_value
      - .actual_access:  read_only
        .address_space:  global
        .offset:         72
        .size:           8
        .value_kind:     global_buffer
      - .actual_access:  read_only
        .address_space:  global
        .offset:         80
        .size:           8
        .value_kind:     global_buffer
      - .actual_access:  read_only
        .address_space:  global
        .offset:         88
        .size:           8
        .value_kind:     global_buffer
      - .actual_access:  write_only
        .address_space:  global
        .offset:         96
        .size:           8
        .value_kind:     global_buffer
    .group_segment_fixed_size: 0
    .kernarg_segment_align: 8
    .kernarg_segment_size: 104
    .language:       OpenCL C
    .language_version:
      - 2
      - 0
    .max_flat_workgroup_size: 120
    .name:           fft_rtc_fwd_len17_factors_17_wgs_120_tpt_1_dp_op_CI_CI_unitstride_sbrr_dirReg
    .private_segment_fixed_size: 0
    .sgpr_count:     58
    .sgpr_spill_count: 0
    .symbol:         fft_rtc_fwd_len17_factors_17_wgs_120_tpt_1_dp_op_CI_CI_unitstride_sbrr_dirReg.kd
    .uniform_work_group_size: 1
    .uses_dynamic_stack: false
    .vgpr_count:     162
    .vgpr_spill_count: 0
    .wavefront_size: 64
amdhsa.target:   amdgcn-amd-amdhsa--gfx950
amdhsa.version:
  - 1
  - 2
...

	.end_amdgpu_metadata
